;; amdgpu-corpus repo=zjin-lcf/HeCBench kind=compiled arch=gfx1250 opt=O3
	.amdgcn_target "amdgcn-amd-amdhsa--gfx1250"
	.amdhsa_code_object_version 6
	.text
	.protected	_Z9stencil3dPKdPdS0_S0_S0_iii ; -- Begin function _Z9stencil3dPKdPdS0_S0_S0_iii
	.globl	_Z9stencil3dPKdPdS0_S0_S0_iii
	.p2align	8
	.type	_Z9stencil3dPKdPdS0_S0_S0_iii,@function
_Z9stencil3dPKdPdS0_S0_S0_iii:          ; @_Z9stencil3dPKdPdS0_S0_S0_iii
; %bb.0:
	s_clause 0x1
	s_load_b96 s[8:10], s[0:1], 0x28
	s_load_b96 s[12:14], s[0:1], 0x38
	s_bfe_u32 s2, ttmp6, 0x40010
	s_bfe_u32 s5, ttmp6, 0x40014
	s_and_b32 s3, ttmp7, 0xffff
	s_add_co_i32 s2, s2, 1
	s_lshr_b32 s6, ttmp7, 16
	s_add_co_i32 s5, s5, 1
	s_mul_i32 s2, s3, s2
	s_bfe_u32 s4, ttmp6, 0x40004
	s_mul_i32 s5, s6, s5
	s_bfe_u32 s7, ttmp6, 0x40008
	s_add_co_i32 s2, s4, s2
	s_getreg_b32 s4, hwreg(HW_REG_IB_STS2, 6, 4)
	s_add_co_i32 s5, s7, s5
	s_cmp_eq_u32 s4, 0
	v_bfe_u32 v1, v0, 10, 10
	s_cselect_b32 s7, s3, s2
	s_cselect_b32 s6, s6, s5
	s_mul_i32 s2, s7, -14
	v_and_b32_e32 v0, 0x3ff, v0
	s_wait_kmcnt 0x0
	s_add_co_i32 s2, s2, s9
	s_add_co_i32 s3, s13, -1
	s_add_co_i32 s2, s2, -1
	s_cmp_eq_u32 s7, s3
	s_mul_i32 s3, s6, -14
	s_cselect_b32 s5, s2, 15
	s_add_co_i32 s2, s3, s10
	s_add_co_i32 s3, s14, -1
	s_add_co_i32 s2, s2, -1
	s_cmp_eq_u32 s6, s3
	v_cmp_ge_i32_e32 vcc_lo, s5, v1
	s_cselect_b32 s13, s2, 15
	s_mov_b32 s3, 0
	v_cmp_ge_i32_e64 s2, s13, v0
	s_and_b32 s2, vcc_lo, s2
	s_delay_alu instid0(SALU_CYCLE_1)
	s_and_saveexec_b32 s11, s2
	s_cbranch_execz .LBB0_18
; %bb.1:
	s_bfe_u32 s2, ttmp6, 0x4000c
	s_load_b64 s[14:15], s[0:1], 0x0
	s_add_co_i32 s2, s2, 1
	s_and_b32 s11, ttmp6, 15
	s_mul_i32 s2, ttmp9, s2
	v_dual_add_nc_u32 v2, s9, v1 :: v_dual_lshlrev_b32 v9, 7, v1
	s_add_co_i32 s11, s11, s2
	s_cmp_eq_u32 s4, 0
	s_mul_i32 s7, s7, 14
	s_cselect_b32 s11, ttmp9, s11
	v_mul_lo_u32 v8, s10, v2
	s_mul_i32 s2, s11, s9
	v_mad_u32 v3, s10, v1, v0
	s_mul_i32 s2, s2, 20
	s_mul_i32 s6, s6, 14
	s_add_co_i32 s2, s2, s7
	v_mov_b64_e32 v[4:5], 0
	s_mul_i32 s2, s2, s10
	v_lshl_add_u32 v10, v0, 3, v9
	s_add_co_i32 s2, s2, s6
	v_cmp_ne_u32_e32 vcc_lo, 0, v0
	v_add_nc_u32_e32 v2, v8, v0
	s_lshl_b64 s[16:17], s[2:3], 3
	s_load_b64 s[2:3], s[0:1], 0x10
	s_wait_kmcnt 0x0
	s_add_nc_u64 s[6:7], s[14:15], s[16:17]
	s_clause 0x1
	global_load_b64 v[6:7], v3, s[6:7] scale_offset
	global_load_b64 v[12:13], v2, s[6:7] scale_offset
	s_wait_xcnt 0x1
	v_ashrrev_i32_e32 v3, 31, v2
	s_add_nc_u64 s[14:15], s[2:3], s[16:17]
	s_wait_loadcnt 0x0
	ds_store_2addr_stride64_b64 v10, v[6:7], v[12:13] offset0:4 offset1:8
	s_wait_dscnt 0x0
	s_barrier_signal -1
	s_barrier_wait -1
	s_and_saveexec_b32 s18, vcc_lo
	s_cbranch_execz .LBB0_5
; %bb.2:
	v_cmp_gt_u32_e64 s2, s13, v0
	v_cmp_gt_u32_e64 s3, s5, v1
	v_cmp_ne_u32_e64 s4, 0, v1
	v_mov_b64_e32 v[4:5], 0
	s_and_b32 s2, s2, s3
	s_delay_alu instid0(SALU_CYCLE_1) | instskip(NEXT) | instid1(SALU_CYCLE_1)
	s_and_b32 s3, s2, s4
	s_and_saveexec_b32 s2, s3
	s_cbranch_execz .LBB0_4
; %bb.3:
	s_add_co_i32 s3, s8, 1
	v_add_nc_u32_e32 v11, 0x800, v10
	v_mad_u32 v4, s9, s3, v1
	s_lshl_b32 s3, s8, 1
	s_delay_alu instid0(SALU_CYCLE_1) | instskip(NEXT) | instid1(VALU_DEP_1)
	s_or_b32 s3, s3, 1
	v_mad_u32 v4, v4, s10, v0
	global_load_b64 v[24:25], v4, s[14:15] scale_offset
	s_wait_xcnt 0x0
	v_lshl_add_u64 v[4:5], v[2:3], 3, s[14:15]
	v_mad_u32 v3, s3, s9, v1
	global_load_b64 v[26:27], v[4:5], off
	v_mad_u32 v3, v3, s10, v0
	global_load_b64 v[28:29], v3, s[14:15] scale_offset
	s_wait_xcnt 0x0
	v_add_nc_u32_e32 v3, 0x400, v10
	ds_load_2addr_b64 v[4:7], v3 offset0:112 offset1:129
	ds_load_2addr_b64 v[12:15], v11 offset0:16 offset1:240
	v_add_nc_u32_e32 v3, 0x7f8, v10
	v_add_nc_u32_e32 v11, 0x1000, v10
	s_wait_dscnt 0x0
	v_add_f64_e64 v[4:5], v[12:13], -v[4:5]
	s_delay_alu instid0(VALU_DEP_1)
	v_add_f64_e64 v[4:5], v[4:5], -v[14:15]
	ds_load_2addr_b64 v[12:15], v3 offset1:1
	ds_load_2addr_b64 v[16:19], v11 offset0:1 offset1:16
	v_add_nc_u32_e32 v3, 0xff8, v10
	ds_load_2addr_b64 v[20:23], v3 offset1:1
	s_wait_dscnt 0x2
	v_add_f64_e64 v[6:7], v[6:7], -v[12:13]
	s_wait_dscnt 0x0
	v_add_f64_e64 v[12:13], v[22:23], -v[14:15]
	v_add_f64_e32 v[4:5], v[4:5], v[18:19]
	s_delay_alu instid0(VALU_DEP_3) | instskip(NEXT) | instid1(VALU_DEP_2)
	v_add_f64_e64 v[6:7], v[6:7], -v[20:21]
	v_ldexp_f64 v[4:5], v[4:5], -2
	s_delay_alu instid0(VALU_DEP_2) | instskip(NEXT) | instid1(VALU_DEP_1)
	v_add_f64_e32 v[6:7], v[6:7], v[16:17]
	v_ldexp_f64 v[6:7], v[6:7], -2
	s_wait_loadcnt 0x2
	s_delay_alu instid0(VALU_DEP_3) | instskip(SKIP_1) | instid1(VALU_DEP_1)
	v_mul_f64_e32 v[4:5], v[4:5], v[24:25]
	s_wait_loadcnt 0x1
	v_fmac_f64_e32 v[4:5], v[12:13], v[26:27]
	s_wait_loadcnt 0x0
	s_delay_alu instid0(VALU_DEP_1) | instskip(NEXT) | instid1(VALU_DEP_1)
	v_fmac_f64_e32 v[4:5], v[6:7], v[28:29]
	v_add_f64_e64 v[4:5], -v[4:5], 0
.LBB0_4:
	s_or_b32 exec_lo, exec_lo, s2
.LBB0_5:
	s_delay_alu instid0(SALU_CYCLE_1) | instskip(SKIP_3) | instid1(SALU_CYCLE_1)
	s_or_b32 exec_lo, exec_lo, s18
	s_mul_i32 s2, s11, 0xffffffec
	s_add_co_i32 s3, s12, -1
	s_add_co_i32 s2, s2, s8
	s_add_co_i32 s2, s2, -1
	s_cmp_eq_u32 s11, s3
	s_mov_b32 s11, 2
	s_cselect_b32 s19, s2, 21
	s_delay_alu instid0(SALU_CYCLE_1)
	s_cmp_lt_i32 s19, 2
	s_cbranch_scc1 .LBB0_18
; %bb.6:
	s_lshl_b32 s3, s8, 1
	s_clause 0x1
	s_load_b64 s[24:25], s[0:1], 0x8
	s_load_b128 s[20:23], s[0:1], 0x18
	s_wait_xcnt 0x0
	v_cmp_gt_u32_e64 s1, s5, v1
	s_add_co_i32 s4, s8, 1
	s_add_co_i32 s5, s8, 2
	s_or_b32 s8, s3, 1
	v_mad_u32 v6, s9, s4, v1
	v_mad_u32 v3, s9, s8, v1
	s_add_co_i32 s3, s3, 2
	v_mad_u32 v7, s9, s5, v1
	v_mad_u32 v12, s9, s3, v1
	v_cmp_ne_u32_e64 s2, 0, v1
	v_lshl_add_u32 v1, s9, 1, v1
	v_cmp_gt_u32_e64 s0, s13, v0
	v_add3_u32 v17, v8, s10, v0
	v_lshlrev_b32_e32 v18, 3, v0
	s_mov_b32 s18, 0
	v_mul_lo_u32 v11, s10, v6
	v_mul_lo_u32 v3, s10, v3
	v_mad_u32 v14, s10, v1, v0
	v_mad_u32 v13, s10, v7, v0
	;; [unrolled: 1-line block ×3, first 2 shown]
	s_and_b32 s3, vcc_lo, s0
	s_and_b32 s26, s2, s0
	v_mov_b32_e32 v1, 0
	s_and_b32 s0, s1, s3
	s_wait_kmcnt 0x0
	s_add_nc_u64 s[2:3], s[24:25], s[16:17]
	s_add_nc_u64 s[4:5], s[20:21], s[16:17]
	v_add3_u32 v16, v11, s10, v0
	v_add3_u32 v15, v3, s10, v0
	s_add_nc_u64 s[12:13], s[22:23], s[16:17]
	s_and_b32 s8, s1, s26
	s_and_b32 s16, vcc_lo, s26
	s_mul_i32 s9, s10, s9
	s_and_b32 s1, s1, s16
	s_and_b32 s16, vcc_lo, s8
	s_mov_b32 s20, 1
	s_add_co_i32 s10, s19, -1
	s_mov_b32 s17, 0
	s_branch .LBB0_8
.LBB0_7:                                ;   in Loop: Header=BB0_8 Depth=1
	s_wait_xcnt 0x0
	s_or_b32 exec_lo, exec_lo, s20
	s_add_co_i32 s10, s10, -1
	s_add_co_i32 s18, s18, s9
	s_cmp_lg_u32 s10, 0
	s_mov_b32 s20, s11
	s_mov_b32 s11, s17
	;; [unrolled: 1-line block ×3, first 2 shown]
	s_wait_storecnt 0x0
	s_barrier_signal -1
	s_barrier_wait -1
	s_cbranch_scc0 .LBB0_18
.LBB0_8:                                ; =>This Inner Loop Header: Depth=1
	v_add_nc_u32_e32 v6, s18, v14
	v_lshl_add_u32 v20, s17, 11, v9
	s_mov_b32 s19, s20
	s_delay_alu instid0(SALU_CYCLE_1)
	v_lshl_add_u32 v7, s19, 11, v10
	global_load_b64 v[22:23], v6, s[6:7] scale_offset
	v_lshl_add_u32 v19, v0, 3, v20
	s_wait_loadcnt 0x0
	ds_store_b64 v19, v[22:23]
	s_wait_dscnt 0x0
	s_barrier_signal -1
	s_barrier_wait -1
	s_and_saveexec_b32 s20, s0
	s_cbranch_execz .LBB0_10
; %bb.9:                                ;   in Loop: Header=BB0_8 Depth=1
	ds_load_2addr_b64 v[22:25], v7 offset1:16
	s_wait_dscnt 0x0
	v_add_f64_e64 v[34:35], -v[22:23], -v[24:25]
	v_add_nc_u32_e32 v21, s18, v16
	global_load_b64 v[38:39], v21, s[4:5] scale_offset
	s_wait_xcnt 0x0
	v_add_nc_u32_e32 v21, s18, v17
	global_load_b64 v[40:41], v21, s[4:5] scale_offset
	s_wait_xcnt 0x0
	;; [unrolled: 3-line block ×3, first 2 shown]
	v_lshl_add_u32 v21, s11, 11, v10
	s_delay_alu instid0(VALU_DEP_1)
	v_add_nc_u32_e32 v26, -8, v21
	ds_load_2addr_b64 v[22:25], v19 offset1:16
	ds_load_2addr_b64 v[26:29], v26 offset1:1
	ds_load_2addr_b64 v[30:33], v21 offset0:1 offset1:17
	s_wait_dscnt 0x2
	v_add_f64_e32 v[22:23], v[34:35], v[22:23]
	ds_load_2addr_b64 v[34:37], v21 offset0:15 offset1:16
	s_wait_dscnt 0x1
	v_add_f64_e64 v[26:27], v[30:31], -v[26:27]
	v_add_f64_e32 v[22:23], v[22:23], v[24:25]
	s_wait_dscnt 0x0
	s_delay_alu instid0(VALU_DEP_2) | instskip(SKIP_1) | instid1(VALU_DEP_3)
	v_add_f64_e64 v[24:25], v[26:27], -v[34:35]
	v_add_f64_e64 v[26:27], v[36:37], -v[28:29]
	v_ldexp_f64 v[22:23], v[22:23], -2
	s_delay_alu instid0(VALU_DEP_3) | instskip(NEXT) | instid1(VALU_DEP_1)
	v_add_f64_e32 v[24:25], v[24:25], v[32:33]
	v_ldexp_f64 v[24:25], v[24:25], -2
	s_wait_loadcnt 0x2
	s_delay_alu instid0(VALU_DEP_4) | instskip(SKIP_1) | instid1(VALU_DEP_1)
	v_mul_f64_e32 v[26:27], v[26:27], v[38:39]
	s_wait_loadcnt 0x1
	v_fmac_f64_e32 v[26:27], v[22:23], v[40:41]
	s_wait_loadcnt 0x0
	s_delay_alu instid0(VALU_DEP_1) | instskip(NEXT) | instid1(VALU_DEP_1)
	v_fmac_f64_e32 v[26:27], v[24:25], v[42:43]
	v_add_f64_e32 v[4:5], v[4:5], v[26:27]
	ds_store_b64 v10, v[26:27] offset:6144
.LBB0_10:                               ;   in Loop: Header=BB0_8 Depth=1
	s_or_b32 exec_lo, exec_lo, s20
	s_wait_dscnt 0x0
	s_barrier_signal -1
	s_barrier_wait -1
	s_and_saveexec_b32 s20, s16
	s_cbranch_execz .LBB0_12
; %bb.11:                               ;   in Loop: Header=BB0_8 Depth=1
	ds_load_b64 v[22:23], v10 offset:6016
	s_wait_dscnt 0x0
	v_add_f64_e64 v[4:5], v[4:5], -v[22:23]
.LBB0_12:                               ;   in Loop: Header=BB0_8 Depth=1
	s_or_b32 exec_lo, exec_lo, s20
	s_barrier_signal -1
	s_barrier_wait -1
	s_and_saveexec_b32 s20, s8
	s_cbranch_execz .LBB0_14
; %bb.13:                               ;   in Loop: Header=BB0_8 Depth=1
	v_add_nc_u32_e32 v22, s18, v11
	s_lshl_b32 s21, s11, 11
	s_delay_alu instid0(SALU_CYCLE_1) | instskip(NEXT) | instid1(VALU_DEP_2)
	v_add3_u32 v21, v9, s21, v18
	v_ashrrev_i32_e32 v23, 31, v22
	s_delay_alu instid0(VALU_DEP_1) | instskip(NEXT) | instid1(VALU_DEP_1)
	v_add_nc_u64_e32 v[22:23], v[22:23], v[0:1]
	v_lshl_add_u64 v[22:23], v[22:23], 3, s[12:13]
	global_load_b64 v[34:35], v[22:23], off offset:8
	s_wait_xcnt 0x0
	v_add_nc_u32_e32 v22, s18, v8
	s_delay_alu instid0(VALU_DEP_1) | instskip(NEXT) | instid1(VALU_DEP_1)
	v_ashrrev_i32_e32 v23, 31, v22
	v_add_nc_u64_e32 v[22:23], v[22:23], v[0:1]
	s_delay_alu instid0(VALU_DEP_1) | instskip(SKIP_3) | instid1(VALU_DEP_1)
	v_lshl_add_u64 v[22:23], v[22:23], 3, s[12:13]
	global_load_b64 v[36:37], v[22:23], off offset:8
	s_wait_xcnt 0x0
	v_add_nc_u32_e32 v22, s18, v3
	v_ashrrev_i32_e32 v23, 31, v22
	s_delay_alu instid0(VALU_DEP_1) | instskip(NEXT) | instid1(VALU_DEP_1)
	v_add_nc_u64_e32 v[22:23], v[22:23], v[0:1]
	v_lshl_add_u64 v[22:23], v[22:23], 3, s[12:13]
	global_load_b64 v[38:39], v[22:23], off offset:8
	s_wait_xcnt 0x0
	v_add_nc_u32_e32 v22, 0xffffff80, v21
	ds_load_2addr_b64 v[22:25], v22 offset1:1
	ds_load_2addr_b64 v[26:29], v21 offset0:16 offset1:17
	s_wait_dscnt 0x1
	v_add_f64_e64 v[30:31], -v[22:23], -v[24:25]
	ds_load_2addr_b64 v[22:25], v7 offset1:1
	s_wait_dscnt 0x0
	v_add_f64_e64 v[40:41], -v[22:23], -v[24:25]
	v_add_f64_e32 v[26:27], v[30:31], v[26:27]
	ds_load_2addr_b64 v[22:25], v19 offset1:1
	ds_load_2addr_b64 v[30:33], v21 offset1:1
	s_wait_dscnt 0x1
	v_add_f64_e32 v[22:23], v[40:41], v[22:23]
	v_add_f64_e32 v[26:27], v[26:27], v[28:29]
	s_delay_alu instid0(VALU_DEP_2) | instskip(NEXT) | instid1(VALU_DEP_2)
	v_add_f64_e32 v[22:23], v[22:23], v[24:25]
	v_ldexp_f64 v[24:25], v[26:27], -2
	s_wait_dscnt 0x0
	v_add_f64_e64 v[26:27], v[32:33], -v[30:31]
	s_delay_alu instid0(VALU_DEP_3) | instskip(SKIP_1) | instid1(VALU_DEP_3)
	v_ldexp_f64 v[22:23], v[22:23], -2
	s_wait_loadcnt 0x2
	v_mul_f64_e32 v[24:25], v[24:25], v[34:35]
	s_wait_loadcnt 0x1
	s_delay_alu instid0(VALU_DEP_1) | instskip(SKIP_1) | instid1(VALU_DEP_1)
	v_fmac_f64_e32 v[24:25], v[22:23], v[36:37]
	s_wait_loadcnt 0x0
	v_fmac_f64_e32 v[24:25], v[26:27], v[38:39]
	s_delay_alu instid0(VALU_DEP_1)
	v_add_f64_e32 v[4:5], v[4:5], v[24:25]
	ds_store_b64 v10, v[24:25] offset:6144
.LBB0_14:                               ;   in Loop: Header=BB0_8 Depth=1
	s_or_b32 exec_lo, exec_lo, s20
	s_wait_dscnt 0x0
	s_barrier_signal -1
	s_barrier_wait -1
	s_and_saveexec_b32 s20, s1
	s_cbranch_execz .LBB0_16
; %bb.15:                               ;   in Loop: Header=BB0_8 Depth=1
	ds_load_b64 v[22:23], v10 offset:6136
	s_wait_dscnt 0x0
	v_add_f64_e64 v[4:5], v[4:5], -v[22:23]
.LBB0_16:                               ;   in Loop: Header=BB0_8 Depth=1
	s_or_b32 exec_lo, exec_lo, s20
	s_barrier_signal -1
	s_barrier_wait -1
	s_and_saveexec_b32 s20, s1
	s_cbranch_execz .LBB0_7
; %bb.17:                               ;   in Loop: Header=BB0_8 Depth=1
	v_dual_add_nc_u32 v7, s18, v13 :: v_dual_add_nc_u32 v21, s18, v12
	s_lshl_b32 s21, s11, 11
	v_add3_u32 v20, v20, v18, 0xffffff80
	v_add3_u32 v28, v9, s21, v18
	s_clause 0x1
	global_load_b64 v[36:37], v7, s[14:15] scale_offset
	global_load_b64 v[38:39], v21, s[14:15] scale_offset
	s_wait_xcnt 0x1
	v_ashrrev_i32_e32 v7, 31, v6
	s_wait_xcnt 0x0
	v_add_nc_u32_e32 v21, 0xffffff80, v28
	s_delay_alu instid0(VALU_DEP_2)
	v_lshl_add_u64 v[6:7], v[6:7], 3, s[14:15]
	global_load_b64 v[6:7], v[6:7], off
	ds_load_b64 v[26:27], v21
	ds_load_2addr_b64 v[22:25], v28 offset0:1 offset1:16
	ds_load_b64 v[20:21], v20
	s_wait_dscnt 0x1
	v_add_f64_e64 v[24:25], v[24:25], -v[26:27]
	s_wait_dscnt 0x0
	s_delay_alu instid0(VALU_DEP_1)
	v_add_f64_e64 v[20:21], v[24:25], -v[20:21]
	v_add_nc_u32_e32 v24, -8, v28
	ds_load_2addr_b64 v[24:27], v24 offset1:1
	ds_load_2addr_b64 v[28:31], v19 offset0:1 offset1:16
	v_add_nc_u32_e32 v19, -8, v19
	ds_load_2addr_b64 v[32:35], v19 offset1:1
	s_wait_dscnt 0x2
	v_dual_add_f64 v[22:23], v[22:23], -v[24:25] :: v_dual_add_nc_u32 v19, s18, v2
	s_wait_dscnt 0x0
	v_add_f64_e64 v[24:25], v[34:35], -v[26:27]
	v_add_f64_e32 v[20:21], v[20:21], v[30:31]
	s_delay_alu instid0(VALU_DEP_3) | instskip(NEXT) | instid1(VALU_DEP_2)
	v_add_f64_e64 v[22:23], v[22:23], -v[32:33]
	v_ldexp_f64 v[20:21], v[20:21], -2
	s_delay_alu instid0(VALU_DEP_2) | instskip(NEXT) | instid1(VALU_DEP_1)
	v_add_f64_e32 v[22:23], v[22:23], v[28:29]
	v_ldexp_f64 v[22:23], v[22:23], -2
	s_wait_loadcnt 0x2
	s_delay_alu instid0(VALU_DEP_3) | instskip(SKIP_1) | instid1(VALU_DEP_1)
	v_mul_f64_e32 v[20:21], v[20:21], v[36:37]
	s_wait_loadcnt 0x0
	v_fmac_f64_e32 v[20:21], v[24:25], v[6:7]
	s_delay_alu instid0(VALU_DEP_1) | instskip(NEXT) | instid1(VALU_DEP_1)
	v_fmac_f64_e32 v[20:21], v[22:23], v[38:39]
	v_add_f64_e32 v[6:7], v[4:5], v[20:21]
	v_xor_b32_e32 v21, 0x80000000, v21
	s_delay_alu instid0(VALU_DEP_1)
	v_mov_b64_e32 v[4:5], v[20:21]
	global_store_b64 v19, v[6:7], s[2:3] scale_offset
	s_branch .LBB0_7
.LBB0_18:
	s_endpgm
	.section	.rodata,"a",@progbits
	.p2align	6, 0x0
	.amdhsa_kernel _Z9stencil3dPKdPdS0_S0_S0_iii
		.amdhsa_group_segment_fixed_size 8192
		.amdhsa_private_segment_fixed_size 0
		.amdhsa_kernarg_size 312
		.amdhsa_user_sgpr_count 2
		.amdhsa_user_sgpr_dispatch_ptr 0
		.amdhsa_user_sgpr_queue_ptr 0
		.amdhsa_user_sgpr_kernarg_segment_ptr 1
		.amdhsa_user_sgpr_dispatch_id 0
		.amdhsa_user_sgpr_kernarg_preload_length 0
		.amdhsa_user_sgpr_kernarg_preload_offset 0
		.amdhsa_user_sgpr_private_segment_size 0
		.amdhsa_wavefront_size32 1
		.amdhsa_uses_dynamic_stack 0
		.amdhsa_enable_private_segment 0
		.amdhsa_system_sgpr_workgroup_id_x 1
		.amdhsa_system_sgpr_workgroup_id_y 1
		.amdhsa_system_sgpr_workgroup_id_z 1
		.amdhsa_system_sgpr_workgroup_info 0
		.amdhsa_system_vgpr_workitem_id 1
		.amdhsa_next_free_vgpr 44
		.amdhsa_next_free_sgpr 27
		.amdhsa_named_barrier_count 0
		.amdhsa_reserve_vcc 1
		.amdhsa_float_round_mode_32 0
		.amdhsa_float_round_mode_16_64 0
		.amdhsa_float_denorm_mode_32 3
		.amdhsa_float_denorm_mode_16_64 3
		.amdhsa_fp16_overflow 0
		.amdhsa_memory_ordered 1
		.amdhsa_forward_progress 1
		.amdhsa_inst_pref_size 18
		.amdhsa_round_robin_scheduling 0
		.amdhsa_exception_fp_ieee_invalid_op 0
		.amdhsa_exception_fp_denorm_src 0
		.amdhsa_exception_fp_ieee_div_zero 0
		.amdhsa_exception_fp_ieee_overflow 0
		.amdhsa_exception_fp_ieee_underflow 0
		.amdhsa_exception_fp_ieee_inexact 0
		.amdhsa_exception_int_div_zero 0
	.end_amdhsa_kernel
	.text
.Lfunc_end0:
	.size	_Z9stencil3dPKdPdS0_S0_S0_iii, .Lfunc_end0-_Z9stencil3dPKdPdS0_S0_S0_iii
                                        ; -- End function
	.set _Z9stencil3dPKdPdS0_S0_S0_iii.num_vgpr, 44
	.set _Z9stencil3dPKdPdS0_S0_S0_iii.num_agpr, 0
	.set _Z9stencil3dPKdPdS0_S0_S0_iii.numbered_sgpr, 27
	.set _Z9stencil3dPKdPdS0_S0_S0_iii.num_named_barrier, 0
	.set _Z9stencil3dPKdPdS0_S0_S0_iii.private_seg_size, 0
	.set _Z9stencil3dPKdPdS0_S0_S0_iii.uses_vcc, 1
	.set _Z9stencil3dPKdPdS0_S0_S0_iii.uses_flat_scratch, 0
	.set _Z9stencil3dPKdPdS0_S0_S0_iii.has_dyn_sized_stack, 0
	.set _Z9stencil3dPKdPdS0_S0_S0_iii.has_recursion, 0
	.set _Z9stencil3dPKdPdS0_S0_S0_iii.has_indirect_call, 0
	.section	.AMDGPU.csdata,"",@progbits
; Kernel info:
; codeLenInByte = 2212
; TotalNumSgprs: 29
; NumVgprs: 44
; ScratchSize: 0
; MemoryBound: 0
; FloatMode: 240
; IeeeMode: 1
; LDSByteSize: 8192 bytes/workgroup (compile time only)
; SGPRBlocks: 0
; VGPRBlocks: 2
; NumSGPRsForWavesPerEU: 29
; NumVGPRsForWavesPerEU: 44
; NamedBarCnt: 0
; Occupancy: 16
; WaveLimiterHint : 0
; COMPUTE_PGM_RSRC2:SCRATCH_EN: 0
; COMPUTE_PGM_RSRC2:USER_SGPR: 2
; COMPUTE_PGM_RSRC2:TRAP_HANDLER: 0
; COMPUTE_PGM_RSRC2:TGID_X_EN: 1
; COMPUTE_PGM_RSRC2:TGID_Y_EN: 1
; COMPUTE_PGM_RSRC2:TGID_Z_EN: 1
; COMPUTE_PGM_RSRC2:TIDIG_COMP_CNT: 1
	.text
	.p2alignl 7, 3214868480
	.fill 96, 4, 3214868480
	.section	.AMDGPU.gpr_maximums,"",@progbits
	.set amdgpu.max_num_vgpr, 0
	.set amdgpu.max_num_agpr, 0
	.set amdgpu.max_num_sgpr, 0
	.text
	.type	__hip_cuid_8fe5d10b0972e1c3,@object ; @__hip_cuid_8fe5d10b0972e1c3
	.section	.bss,"aw",@nobits
	.globl	__hip_cuid_8fe5d10b0972e1c3
__hip_cuid_8fe5d10b0972e1c3:
	.byte	0                               ; 0x0
	.size	__hip_cuid_8fe5d10b0972e1c3, 1

	.ident	"AMD clang version 22.0.0git (https://github.com/RadeonOpenCompute/llvm-project roc-7.2.4 26084 f58b06dce1f9c15707c5f808fd002e18c2accf7e)"
	.section	".note.GNU-stack","",@progbits
	.addrsig
	.addrsig_sym __hip_cuid_8fe5d10b0972e1c3
	.amdgpu_metadata
---
amdhsa.kernels:
  - .args:
      - .actual_access:  read_only
        .address_space:  global
        .offset:         0
        .size:           8
        .value_kind:     global_buffer
      - .actual_access:  write_only
        .address_space:  global
        .offset:         8
        .size:           8
        .value_kind:     global_buffer
      - .actual_access:  read_only
        .address_space:  global
        .offset:         16
        .size:           8
        .value_kind:     global_buffer
      - .actual_access:  read_only
        .address_space:  global
        .offset:         24
        .size:           8
        .value_kind:     global_buffer
      - .actual_access:  read_only
        .address_space:  global
        .offset:         32
        .size:           8
        .value_kind:     global_buffer
      - .offset:         40
        .size:           4
        .value_kind:     by_value
      - .offset:         44
        .size:           4
        .value_kind:     by_value
      - .offset:         48
        .size:           4
        .value_kind:     by_value
      - .offset:         56
        .size:           4
        .value_kind:     hidden_block_count_x
      - .offset:         60
        .size:           4
        .value_kind:     hidden_block_count_y
      - .offset:         64
        .size:           4
        .value_kind:     hidden_block_count_z
      - .offset:         68
        .size:           2
        .value_kind:     hidden_group_size_x
      - .offset:         70
        .size:           2
        .value_kind:     hidden_group_size_y
      - .offset:         72
        .size:           2
        .value_kind:     hidden_group_size_z
      - .offset:         74
        .size:           2
        .value_kind:     hidden_remainder_x
      - .offset:         76
        .size:           2
        .value_kind:     hidden_remainder_y
      - .offset:         78
        .size:           2
        .value_kind:     hidden_remainder_z
      - .offset:         96
        .size:           8
        .value_kind:     hidden_global_offset_x
      - .offset:         104
        .size:           8
        .value_kind:     hidden_global_offset_y
      - .offset:         112
        .size:           8
        .value_kind:     hidden_global_offset_z
      - .offset:         120
        .size:           2
        .value_kind:     hidden_grid_dims
    .group_segment_fixed_size: 8192
    .kernarg_segment_align: 8
    .kernarg_segment_size: 312
    .language:       OpenCL C
    .language_version:
      - 2
      - 0
    .max_flat_workgroup_size: 1024
    .name:           _Z9stencil3dPKdPdS0_S0_S0_iii
    .private_segment_fixed_size: 0
    .sgpr_count:     29
    .sgpr_spill_count: 0
    .symbol:         _Z9stencil3dPKdPdS0_S0_S0_iii.kd
    .uniform_work_group_size: 1
    .uses_dynamic_stack: false
    .vgpr_count:     44
    .vgpr_spill_count: 0
    .wavefront_size: 32
amdhsa.target:   amdgcn-amd-amdhsa--gfx1250
amdhsa.version:
  - 1
  - 2
...

	.end_amdgpu_metadata
